;; amdgpu-corpus repo=ROCm/rocFFT kind=compiled arch=gfx1201 opt=O3
	.text
	.amdgcn_target "amdgcn-amd-amdhsa--gfx1201"
	.amdhsa_code_object_version 6
	.protected	fft_rtc_back_len1300_factors_10_10_13_wgs_130_tpt_130_half_op_CI_CI_unitstride_sbrr_dirReg ; -- Begin function fft_rtc_back_len1300_factors_10_10_13_wgs_130_tpt_130_half_op_CI_CI_unitstride_sbrr_dirReg
	.globl	fft_rtc_back_len1300_factors_10_10_13_wgs_130_tpt_130_half_op_CI_CI_unitstride_sbrr_dirReg
	.p2align	8
	.type	fft_rtc_back_len1300_factors_10_10_13_wgs_130_tpt_130_half_op_CI_CI_unitstride_sbrr_dirReg,@function
fft_rtc_back_len1300_factors_10_10_13_wgs_130_tpt_130_half_op_CI_CI_unitstride_sbrr_dirReg: ; @fft_rtc_back_len1300_factors_10_10_13_wgs_130_tpt_130_half_op_CI_CI_unitstride_sbrr_dirReg
; %bb.0:
	s_clause 0x2
	s_load_b128 s[8:11], s[0:1], 0x0
	s_load_b128 s[4:7], s[0:1], 0x58
	;; [unrolled: 1-line block ×3, first 2 shown]
	v_mul_u32_u24_e32 v1, 0x1f9, v0
	v_mov_b32_e32 v6, 0
	v_mov_b32_e32 v7, 0
	s_delay_alu instid0(VALU_DEP_3) | instskip(NEXT) | instid1(VALU_DEP_1)
	v_lshrrev_b32_e32 v1, 16, v1
	v_dual_mov_b32 v3, 0 :: v_dual_add_nc_u32 v8, ttmp9, v1
	s_delay_alu instid0(VALU_DEP_1) | instskip(SKIP_2) | instid1(VALU_DEP_1)
	v_mov_b32_e32 v9, v3
	s_wait_kmcnt 0x0
	v_cmp_lt_u64_e64 s2, s[10:11], 2
	s_and_b32 vcc_lo, exec_lo, s2
	s_cbranch_vccnz .LBB0_8
; %bb.1:
	s_load_b64 s[2:3], s[0:1], 0x10
	v_mov_b32_e32 v6, 0
	v_mov_b32_e32 v7, 0
	s_delay_alu instid0(VALU_DEP_2)
	v_mov_b32_e32 v1, v6
	s_add_nc_u64 s[16:17], s[14:15], 8
	s_add_nc_u64 s[18:19], s[12:13], 8
	s_mov_b64 s[20:21], 1
	v_mov_b32_e32 v2, v7
	s_wait_kmcnt 0x0
	s_add_nc_u64 s[22:23], s[2:3], 8
	s_mov_b32 s3, 0
.LBB0_2:                                ; =>This Inner Loop Header: Depth=1
	s_load_b64 s[24:25], s[22:23], 0x0
	s_wait_kmcnt 0x0
	s_delay_alu instid0(VALU_DEP_1) | instskip(NEXT) | instid1(VALU_DEP_1)
	v_or_b32_e32 v4, s25, v9
	v_cmp_ne_u64_e32 vcc_lo, 0, v[3:4]
                                        ; implicit-def: $vgpr4_vgpr5
	s_and_saveexec_b32 s2, vcc_lo
	s_wait_alu 0xfffe
	s_xor_b32 s26, exec_lo, s2
	s_cbranch_execz .LBB0_4
; %bb.3:                                ;   in Loop: Header=BB0_2 Depth=1
	s_cvt_f32_u32 s2, s24
	s_cvt_f32_u32 s27, s25
	s_sub_nc_u64 s[30:31], 0, s[24:25]
	s_wait_alu 0xfffe
	s_delay_alu instid0(SALU_CYCLE_1) | instskip(SKIP_1) | instid1(SALU_CYCLE_2)
	s_fmamk_f32 s2, s27, 0x4f800000, s2
	s_wait_alu 0xfffe
	v_s_rcp_f32 s2, s2
	s_delay_alu instid0(TRANS32_DEP_1) | instskip(SKIP_1) | instid1(SALU_CYCLE_2)
	s_mul_f32 s2, s2, 0x5f7ffffc
	s_wait_alu 0xfffe
	s_mul_f32 s27, s2, 0x2f800000
	s_wait_alu 0xfffe
	s_delay_alu instid0(SALU_CYCLE_2) | instskip(SKIP_1) | instid1(SALU_CYCLE_2)
	s_trunc_f32 s27, s27
	s_wait_alu 0xfffe
	s_fmamk_f32 s2, s27, 0xcf800000, s2
	s_cvt_u32_f32 s29, s27
	s_wait_alu 0xfffe
	s_delay_alu instid0(SALU_CYCLE_1) | instskip(SKIP_1) | instid1(SALU_CYCLE_2)
	s_cvt_u32_f32 s28, s2
	s_wait_alu 0xfffe
	s_mul_u64 s[34:35], s[30:31], s[28:29]
	s_wait_alu 0xfffe
	s_mul_hi_u32 s37, s28, s35
	s_mul_i32 s36, s28, s35
	s_mul_hi_u32 s2, s28, s34
	s_mul_i32 s33, s29, s34
	s_wait_alu 0xfffe
	s_add_nc_u64 s[36:37], s[2:3], s[36:37]
	s_mul_hi_u32 s27, s29, s34
	s_mul_hi_u32 s38, s29, s35
	s_add_co_u32 s2, s36, s33
	s_wait_alu 0xfffe
	s_add_co_ci_u32 s2, s37, s27
	s_mul_i32 s34, s29, s35
	s_add_co_ci_u32 s35, s38, 0
	s_wait_alu 0xfffe
	s_add_nc_u64 s[34:35], s[2:3], s[34:35]
	s_wait_alu 0xfffe
	v_add_co_u32 v4, s2, s28, s34
	s_delay_alu instid0(VALU_DEP_1) | instskip(SKIP_1) | instid1(VALU_DEP_1)
	s_cmp_lg_u32 s2, 0
	s_add_co_ci_u32 s29, s29, s35
	v_readfirstlane_b32 s28, v4
	s_wait_alu 0xfffe
	s_delay_alu instid0(VALU_DEP_1)
	s_mul_u64 s[30:31], s[30:31], s[28:29]
	s_wait_alu 0xfffe
	s_mul_hi_u32 s35, s28, s31
	s_mul_i32 s34, s28, s31
	s_mul_hi_u32 s2, s28, s30
	s_mul_i32 s33, s29, s30
	s_wait_alu 0xfffe
	s_add_nc_u64 s[34:35], s[2:3], s[34:35]
	s_mul_hi_u32 s27, s29, s30
	s_mul_hi_u32 s28, s29, s31
	s_wait_alu 0xfffe
	s_add_co_u32 s2, s34, s33
	s_add_co_ci_u32 s2, s35, s27
	s_mul_i32 s30, s29, s31
	s_add_co_ci_u32 s31, s28, 0
	s_wait_alu 0xfffe
	s_add_nc_u64 s[30:31], s[2:3], s[30:31]
	s_wait_alu 0xfffe
	v_add_co_u32 v10, s2, v4, s30
	s_delay_alu instid0(VALU_DEP_1) | instskip(SKIP_1) | instid1(VALU_DEP_1)
	s_cmp_lg_u32 s2, 0
	s_add_co_ci_u32 s2, s29, s31
	v_mul_hi_u32 v14, v8, v10
	s_wait_alu 0xfffe
	v_mad_co_u64_u32 v[4:5], null, v8, s2, 0
	v_mad_co_u64_u32 v[10:11], null, v9, v10, 0
	;; [unrolled: 1-line block ×3, first 2 shown]
	s_delay_alu instid0(VALU_DEP_3) | instskip(SKIP_1) | instid1(VALU_DEP_4)
	v_add_co_u32 v4, vcc_lo, v14, v4
	s_wait_alu 0xfffd
	v_add_co_ci_u32_e32 v5, vcc_lo, 0, v5, vcc_lo
	s_delay_alu instid0(VALU_DEP_2) | instskip(SKIP_1) | instid1(VALU_DEP_2)
	v_add_co_u32 v4, vcc_lo, v4, v10
	s_wait_alu 0xfffd
	v_add_co_ci_u32_e32 v4, vcc_lo, v5, v11, vcc_lo
	s_wait_alu 0xfffd
	v_add_co_ci_u32_e32 v5, vcc_lo, 0, v13, vcc_lo
	s_delay_alu instid0(VALU_DEP_2) | instskip(SKIP_1) | instid1(VALU_DEP_2)
	v_add_co_u32 v10, vcc_lo, v4, v12
	s_wait_alu 0xfffd
	v_add_co_ci_u32_e32 v11, vcc_lo, 0, v5, vcc_lo
	s_delay_alu instid0(VALU_DEP_2) | instskip(SKIP_1) | instid1(VALU_DEP_3)
	v_mul_lo_u32 v12, s25, v10
	v_mad_co_u64_u32 v[4:5], null, s24, v10, 0
	v_mul_lo_u32 v13, s24, v11
	s_delay_alu instid0(VALU_DEP_2) | instskip(NEXT) | instid1(VALU_DEP_2)
	v_sub_co_u32 v4, vcc_lo, v8, v4
	v_add3_u32 v5, v5, v13, v12
	s_delay_alu instid0(VALU_DEP_1) | instskip(SKIP_1) | instid1(VALU_DEP_1)
	v_sub_nc_u32_e32 v12, v9, v5
	s_wait_alu 0xfffd
	v_subrev_co_ci_u32_e64 v12, s2, s25, v12, vcc_lo
	v_add_co_u32 v13, s2, v10, 2
	s_wait_alu 0xf1ff
	v_add_co_ci_u32_e64 v14, s2, 0, v11, s2
	v_sub_co_u32 v15, s2, v4, s24
	v_sub_co_ci_u32_e32 v5, vcc_lo, v9, v5, vcc_lo
	s_wait_alu 0xf1ff
	v_subrev_co_ci_u32_e64 v12, s2, 0, v12, s2
	s_delay_alu instid0(VALU_DEP_3) | instskip(NEXT) | instid1(VALU_DEP_3)
	v_cmp_le_u32_e32 vcc_lo, s24, v15
	v_cmp_eq_u32_e64 s2, s25, v5
	s_wait_alu 0xfffd
	v_cndmask_b32_e64 v15, 0, -1, vcc_lo
	v_cmp_le_u32_e32 vcc_lo, s25, v12
	s_wait_alu 0xfffd
	v_cndmask_b32_e64 v16, 0, -1, vcc_lo
	v_cmp_le_u32_e32 vcc_lo, s24, v4
	;; [unrolled: 3-line block ×3, first 2 shown]
	s_wait_alu 0xfffd
	v_cndmask_b32_e64 v17, 0, -1, vcc_lo
	v_cmp_eq_u32_e32 vcc_lo, s25, v12
	s_wait_alu 0xf1ff
	s_delay_alu instid0(VALU_DEP_2)
	v_cndmask_b32_e64 v4, v17, v4, s2
	s_wait_alu 0xfffd
	v_cndmask_b32_e32 v12, v16, v15, vcc_lo
	v_add_co_u32 v15, vcc_lo, v10, 1
	s_wait_alu 0xfffd
	v_add_co_ci_u32_e32 v16, vcc_lo, 0, v11, vcc_lo
	s_delay_alu instid0(VALU_DEP_3) | instskip(SKIP_1) | instid1(VALU_DEP_2)
	v_cmp_ne_u32_e32 vcc_lo, 0, v12
	s_wait_alu 0xfffd
	v_dual_cndmask_b32 v5, v16, v14 :: v_dual_cndmask_b32 v12, v15, v13
	v_cmp_ne_u32_e32 vcc_lo, 0, v4
	s_wait_alu 0xfffd
	s_delay_alu instid0(VALU_DEP_2)
	v_dual_cndmask_b32 v5, v11, v5 :: v_dual_cndmask_b32 v4, v10, v12
.LBB0_4:                                ;   in Loop: Header=BB0_2 Depth=1
	s_wait_alu 0xfffe
	s_and_not1_saveexec_b32 s2, s26
	s_cbranch_execz .LBB0_6
; %bb.5:                                ;   in Loop: Header=BB0_2 Depth=1
	v_cvt_f32_u32_e32 v4, s24
	s_sub_co_i32 s26, 0, s24
	s_delay_alu instid0(VALU_DEP_1) | instskip(NEXT) | instid1(TRANS32_DEP_1)
	v_rcp_iflag_f32_e32 v4, v4
	v_mul_f32_e32 v4, 0x4f7ffffe, v4
	s_delay_alu instid0(VALU_DEP_1) | instskip(SKIP_1) | instid1(VALU_DEP_1)
	v_cvt_u32_f32_e32 v4, v4
	s_wait_alu 0xfffe
	v_mul_lo_u32 v5, s26, v4
	s_delay_alu instid0(VALU_DEP_1) | instskip(NEXT) | instid1(VALU_DEP_1)
	v_mul_hi_u32 v5, v4, v5
	v_add_nc_u32_e32 v4, v4, v5
	s_delay_alu instid0(VALU_DEP_1) | instskip(NEXT) | instid1(VALU_DEP_1)
	v_mul_hi_u32 v4, v8, v4
	v_mul_lo_u32 v5, v4, s24
	v_add_nc_u32_e32 v10, 1, v4
	s_delay_alu instid0(VALU_DEP_2) | instskip(NEXT) | instid1(VALU_DEP_1)
	v_sub_nc_u32_e32 v5, v8, v5
	v_subrev_nc_u32_e32 v11, s24, v5
	v_cmp_le_u32_e32 vcc_lo, s24, v5
	s_wait_alu 0xfffd
	s_delay_alu instid0(VALU_DEP_2) | instskip(NEXT) | instid1(VALU_DEP_1)
	v_dual_cndmask_b32 v5, v5, v11 :: v_dual_cndmask_b32 v4, v4, v10
	v_cmp_le_u32_e32 vcc_lo, s24, v5
	s_delay_alu instid0(VALU_DEP_2) | instskip(SKIP_1) | instid1(VALU_DEP_1)
	v_dual_mov_b32 v5, v3 :: v_dual_add_nc_u32 v10, 1, v4
	s_wait_alu 0xfffd
	v_cndmask_b32_e32 v4, v4, v10, vcc_lo
.LBB0_6:                                ;   in Loop: Header=BB0_2 Depth=1
	s_wait_alu 0xfffe
	s_or_b32 exec_lo, exec_lo, s2
	v_mul_lo_u32 v12, v5, s24
	s_delay_alu instid0(VALU_DEP_2)
	v_mul_lo_u32 v13, v4, s25
	s_load_b64 s[26:27], s[18:19], 0x0
	v_mad_co_u64_u32 v[10:11], null, v4, s24, 0
	s_load_b64 s[24:25], s[16:17], 0x0
	s_add_nc_u64 s[20:21], s[20:21], 1
	s_add_nc_u64 s[16:17], s[16:17], 8
	s_wait_alu 0xfffe
	v_cmp_ge_u64_e64 s2, s[20:21], s[10:11]
	s_add_nc_u64 s[18:19], s[18:19], 8
	s_add_nc_u64 s[22:23], s[22:23], 8
	v_add3_u32 v11, v11, v13, v12
	v_sub_co_u32 v8, vcc_lo, v8, v10
	s_wait_alu 0xfffd
	s_delay_alu instid0(VALU_DEP_2) | instskip(SKIP_2) | instid1(VALU_DEP_1)
	v_sub_co_ci_u32_e32 v9, vcc_lo, v9, v11, vcc_lo
	s_and_b32 vcc_lo, exec_lo, s2
	s_wait_kmcnt 0x0
	v_mul_lo_u32 v10, s26, v9
	v_mul_lo_u32 v11, s27, v8
	v_mad_co_u64_u32 v[6:7], null, s26, v8, v[6:7]
	v_mul_lo_u32 v9, s24, v9
	v_mul_lo_u32 v12, s25, v8
	v_mad_co_u64_u32 v[1:2], null, s24, v8, v[1:2]
	s_delay_alu instid0(VALU_DEP_4) | instskip(NEXT) | instid1(VALU_DEP_2)
	v_add3_u32 v7, v11, v7, v10
	v_add3_u32 v2, v12, v2, v9
	s_wait_alu 0xfffe
	s_cbranch_vccnz .LBB0_9
; %bb.7:                                ;   in Loop: Header=BB0_2 Depth=1
	v_dual_mov_b32 v9, v5 :: v_dual_mov_b32 v8, v4
	s_branch .LBB0_2
.LBB0_8:
	v_dual_mov_b32 v1, v6 :: v_dual_mov_b32 v2, v7
	v_dual_mov_b32 v4, v8 :: v_dual_mov_b32 v5, v9
.LBB0_9:
	s_load_b64 s[0:1], s[0:1], 0x28
	v_mul_hi_u32 v18, 0x1f81f82, v0
	s_lshl_b64 s[10:11], s[10:11], 3
                                        ; implicit-def: $vgpr3
	s_wait_kmcnt 0x0
	v_cmp_gt_u64_e32 vcc_lo, s[0:1], v[4:5]
	v_cmp_le_u64_e64 s0, s[0:1], v[4:5]
	s_delay_alu instid0(VALU_DEP_1)
	s_and_saveexec_b32 s1, s0
	s_wait_alu 0xfffe
	s_xor_b32 s0, exec_lo, s1
; %bb.10:
	v_mul_u32_u24_e32 v3, 0x82, v18
                                        ; implicit-def: $vgpr18
                                        ; implicit-def: $vgpr6_vgpr7
	s_delay_alu instid0(VALU_DEP_1)
	v_sub_nc_u32_e32 v3, v0, v3
                                        ; implicit-def: $vgpr0
; %bb.11:
	s_wait_alu 0xfffe
	s_or_saveexec_b32 s1, s0
	s_add_nc_u64 s[2:3], s[14:15], s[10:11]
                                        ; implicit-def: $vgpr17
                                        ; implicit-def: $vgpr16
                                        ; implicit-def: $vgpr11
                                        ; implicit-def: $vgpr10
                                        ; implicit-def: $vgpr8
                                        ; implicit-def: $vgpr9
                                        ; implicit-def: $vgpr15
                                        ; implicit-def: $vgpr14
                                        ; implicit-def: $vgpr13
                                        ; implicit-def: $vgpr12
	s_wait_alu 0xfffe
	s_xor_b32 exec_lo, exec_lo, s1
	s_cbranch_execz .LBB0_13
; %bb.12:
	s_add_nc_u64 s[10:11], s[12:13], s[10:11]
	v_lshlrev_b64_e32 v[6:7], 2, v[6:7]
	s_load_b64 s[10:11], s[10:11], 0x0
	s_wait_kmcnt 0x0
	v_mul_lo_u32 v3, s11, v4
	v_mul_lo_u32 v10, s10, v5
	v_mad_co_u64_u32 v[8:9], null, s10, v4, 0
	s_delay_alu instid0(VALU_DEP_1) | instskip(SKIP_1) | instid1(VALU_DEP_2)
	v_add3_u32 v9, v9, v10, v3
	v_mul_u32_u24_e32 v3, 0x82, v18
	v_lshlrev_b64_e32 v[8:9], 2, v[8:9]
	s_delay_alu instid0(VALU_DEP_2) | instskip(NEXT) | instid1(VALU_DEP_2)
	v_sub_nc_u32_e32 v3, v0, v3
	v_add_co_u32 v0, s0, s4, v8
	s_wait_alu 0xf1ff
	s_delay_alu instid0(VALU_DEP_3) | instskip(NEXT) | instid1(VALU_DEP_3)
	v_add_co_ci_u32_e64 v8, s0, s5, v9, s0
	v_lshlrev_b32_e32 v9, 2, v3
	s_delay_alu instid0(VALU_DEP_3) | instskip(SKIP_1) | instid1(VALU_DEP_3)
	v_add_co_u32 v0, s0, v0, v6
	s_wait_alu 0xf1ff
	v_add_co_ci_u32_e64 v7, s0, v8, v7, s0
	s_delay_alu instid0(VALU_DEP_2) | instskip(SKIP_1) | instid1(VALU_DEP_2)
	v_add_co_u32 v6, s0, v0, v9
	s_wait_alu 0xf1ff
	v_add_co_ci_u32_e64 v7, s0, 0, v7, s0
	s_clause 0x9
	global_load_b32 v17, v[6:7], off
	global_load_b32 v15, v[6:7], off offset:520
	global_load_b32 v16, v[6:7], off offset:1040
	;; [unrolled: 1-line block ×9, first 2 shown]
.LBB0_13:
	s_or_b32 exec_lo, exec_lo, s1
	s_wait_loadcnt 0x3
	v_add_f16_e32 v0, v11, v10
	v_lshrrev_b32_e32 v6, 16, v16
	s_wait_loadcnt 0x1
	v_lshrrev_b32_e32 v7, 16, v8
	v_lshrrev_b32_e32 v18, 16, v11
	;; [unrolled: 1-line block ×3, first 2 shown]
	v_fma_f16 v0, -0.5, v0, v17
	v_sub_f16_e32 v21, v8, v10
	v_sub_f16_e32 v20, v6, v7
	v_add_f16_e32 v22, v16, v8
	v_sub_f16_e32 v23, v18, v19
	v_sub_f16_e32 v25, v16, v11
	v_pk_add_f16 v26, v17, v16
	v_fmamk_f16 v24, v20, 0xbb9c, v0
	v_fmac_f16_e32 v0, 0x3b9c, v20
	v_fma_f16 v22, -0.5, v22, v17
	v_add_f16_e32 v21, v25, v21
	v_sub_f16_e32 v27, v10, v8
	v_fmac_f16_e32 v24, 0xb8b4, v23
	v_fmac_f16_e32 v0, 0x38b4, v23
	v_fmamk_f16 v25, v23, 0x3b9c, v22
	v_sub_f16_e32 v28, v11, v16
	v_add_f16_e32 v29, v18, v19
	v_lshrrev_b32_e32 v17, 16, v17
	v_fmac_f16_e32 v22, 0xbb9c, v23
	v_fmac_f16_e32 v24, 0x34f2, v21
	;; [unrolled: 1-line block ×3, first 2 shown]
	v_add_f16_e32 v21, v6, v7
	v_fmac_f16_e32 v25, 0xb8b4, v20
	v_add_f16_e32 v27, v28, v27
	v_fma_f16 v23, -0.5, v29, v17
	v_sub_f16_e32 v16, v16, v8
	v_fmac_f16_e32 v22, 0x38b4, v20
	v_sub_f16_e32 v28, v11, v10
	v_fmac_f16_e32 v17, -0.5, v21
	v_fmac_f16_e32 v25, 0x34f2, v27
	v_fmamk_f16 v20, v16, 0x3b9c, v23
	v_sub_f16_e32 v29, v6, v18
	v_sub_f16_e32 v30, v7, v19
	v_fmac_f16_e32 v23, 0xbb9c, v16
	v_fmac_f16_e32 v22, 0x34f2, v27
	v_fmamk_f16 v27, v28, 0xbb9c, v17
	v_sub_f16_e32 v6, v18, v6
	v_sub_f16_e32 v7, v19, v7
	v_fmac_f16_e32 v17, 0x3b9c, v28
	v_fmac_f16_e32 v20, 0x38b4, v28
	v_add_f16_e32 v21, v29, v30
	v_fmac_f16_e32 v23, 0xb8b4, v28
	v_add_f16_e32 v29, v13, v12
	s_wait_loadcnt 0x0
	v_lshrrev_b32_e32 v30, 16, v9
	v_lshrrev_b32_e32 v31, 16, v14
	v_fmac_f16_e32 v27, 0x38b4, v16
	v_lshrrev_b32_e32 v32, 16, v13
	v_lshrrev_b32_e32 v33, 16, v12
	v_sub_f16_e32 v28, v9, v12
	v_sub_f16_e32 v34, v14, v13
	v_add_f16_e32 v6, v6, v7
	v_add_f16_e32 v7, v14, v9
	v_fmac_f16_e32 v17, 0xb8b4, v16
	v_fmac_f16_e32 v20, 0x34f2, v21
	;; [unrolled: 1-line block ×3, first 2 shown]
	v_fma_f16 v21, -0.5, v29, v15
	v_add_f16_e32 v16, v34, v28
	v_fmac_f16_e32 v27, 0x34f2, v6
	v_fma_f16 v7, -0.5, v7, v15
	v_fmac_f16_e32 v17, 0x34f2, v6
	v_pk_add_f16 v6, v15, v14
	v_add_f16_e32 v34, v32, v33
	v_lshrrev_b32_e32 v15, 16, v15
	v_sub_f16_e32 v35, v12, v9
	v_sub_f16_e32 v36, v13, v14
	v_add_f16_e32 v37, v31, v30
	v_sub_f16_e32 v14, v14, v9
	v_fma_f16 v34, -0.5, v34, v15
	v_sub_f16_e32 v29, v31, v30
	v_add_f16_e32 v35, v36, v35
	v_sub_f16_e32 v36, v13, v12
	v_fmac_f16_e32 v15, -0.5, v37
	v_sub_f16_e32 v19, v32, v33
	v_fmamk_f16 v37, v14, 0x3b9c, v34
	v_sub_f16_e32 v38, v31, v32
	v_sub_f16_e32 v39, v30, v33
	v_fmamk_f16 v40, v36, 0xbb9c, v15
	v_sub_f16_e32 v31, v32, v31
	v_sub_f16_e32 v30, v33, v30
	v_fmamk_f16 v18, v29, 0xbb9c, v21
	v_fmamk_f16 v28, v19, 0x3b9c, v7
	v_fmac_f16_e32 v37, 0x38b4, v36
	v_add_f16_e32 v32, v38, v39
	v_fmac_f16_e32 v40, 0x38b4, v14
	v_add_f16_e32 v30, v31, v30
	v_fmac_f16_e32 v18, 0xb8b4, v19
	v_fmac_f16_e32 v28, 0xb8b4, v29
	;; [unrolled: 1-line block ×12, first 2 shown]
	v_mul_f16_e32 v14, 0xb8b4, v37
	v_mul_f16_e32 v29, 0xbb9c, v40
	v_fmac_f16_e32 v21, 0x38b4, v19
	v_pk_add_f16 v6, v6, v13
	v_fmac_f16_e32 v34, 0xb8b4, v36
	v_fmac_f16_e32 v14, 0x3a79, v18
	;; [unrolled: 1-line block ×6, first 2 shown]
	v_add_f16_e32 v16, v24, v14
	v_add_f16_e32 v19, v25, v29
	v_sub_f16_e32 v14, v24, v14
	v_sub_f16_e32 v24, v25, v29
	v_and_b32_e32 v25, 0xff, v3
	v_mul_f16_e32 v18, 0x38b4, v18
	v_pk_add_f16 v11, v26, v11
	v_fmac_f16_e32 v7, 0x34f2, v35
	v_mul_f16_e32 v30, 0xbb9c, v15
	v_mul_lo_u16 v13, 0xcd, v25
	v_mul_f16_e32 v33, 0x34f2, v40
	v_mul_f16_e32 v15, 0xb4f2, v15
	;; [unrolled: 1-line block ×4, first 2 shown]
	v_lshrrev_b16 v25, 11, v13
	v_fmac_f16_e32 v18, 0x3a79, v37
	v_pk_add_f16 v10, v11, v10
	v_pk_add_f16 v6, v6, v12
	v_fmac_f16_e32 v30, 0xb4f2, v7
	v_mul_lo_u16 v13, v25, 10
	v_fmac_f16_e32 v33, 0x3b9c, v28
	v_fmac_f16_e32 v15, 0x3b9c, v7
	;; [unrolled: 1-line block ×4, first 2 shown]
	v_sub_nc_u16 v13, v3, v13
	v_add_f16_e32 v21, v20, v18
	v_mul_u32_u24_e32 v12, 10, v3
	v_pk_add_f16 v10, v10, v8
	v_pk_add_f16 v6, v9, v6
	v_and_b32_e32 v26, 0xff, v13
	v_add_f16_e32 v31, v22, v30
	v_add_f16_e32 v28, v27, v33
	;; [unrolled: 1-line block ×5, first 2 shown]
	v_sub_f16_e32 v18, v20, v18
	v_sub_f16_e32 v11, v27, v33
	v_sub_f16_e32 v22, v22, v30
	v_sub_f16_e32 v0, v0, v32
	v_sub_f16_e32 v9, v17, v15
	v_sub_f16_e32 v15, v23, v34
	v_lshl_add_u32 v8, v12, 2, 0
	v_pk_add_f16 v12, v10, v6
	v_pack_b32_f16 v16, v16, v21
	v_mul_u32_u24_e32 v13, 9, v26
	v_pack_b32_f16 v17, v31, v35
	v_pack_b32_f16 v19, v19, v28
	v_pk_add_f16 v6, v10, v6 neg_lo:[0,1] neg_hi:[0,1]
	v_pack_b32_f16 v7, v7, v36
	v_pack_b32_f16 v10, v24, v11
	;; [unrolled: 1-line block ×5, first 2 shown]
	s_load_b64 s[2:3], s[2:3], 0x0
	ds_store_2addr_b32 v8, v12, v16 offset1:1
	ds_store_2addr_b32 v8, v19, v17 offset0:2 offset1:3
	ds_store_2addr_b32 v8, v7, v6 offset0:4 offset1:5
	ds_store_2addr_b32 v8, v11, v10 offset0:6 offset1:7
	ds_store_2addr_b32 v8, v9, v0 offset0:8 offset1:9
	v_lshlrev_b32_e32 v0, 2, v13
	global_wb scope:SCOPE_SE
	s_wait_dscnt 0x0
	s_wait_kmcnt 0x0
	s_barrier_signal -1
	s_barrier_wait -1
	global_inv scope:SCOPE_SE
	s_clause 0x2
	global_load_b128 v[9:12], v0, s[8:9]
	global_load_b128 v[13:16], v0, s[8:9] offset:16
	global_load_b32 v0, v0, s[8:9] offset:32
	v_mad_i32_i24 v17, 0xffffffdc, v3, v8
	v_and_b32_e32 v27, 0xffff, v25
	v_lshlrev_b32_e32 v26, 2, v26
	v_cmp_gt_u32_e64 s0, 0x64, v3
	s_delay_alu instid0(VALU_DEP_4)
	v_add_nc_u32_e32 v6, 0xc00, v17
	v_add_nc_u32_e32 v20, 0x1000, v17
	;; [unrolled: 1-line block ×3, first 2 shown]
	ds_load_2addr_b32 v[18:19], v17 offset1:130
	ds_load_2addr_b32 v[6:7], v6 offset0:12 offset1:142
	v_add_nc_u32_e32 v17, 0x800, v17
	ds_load_2addr_b32 v[20:21], v20 offset0:16 offset1:146
	ds_load_2addr_b32 v[22:23], v22 offset0:4 offset1:134
	;; [unrolled: 1-line block ×3, first 2 shown]
	v_mul_u32_u24_e32 v17, 0x190, v27
	global_wb scope:SCOPE_SE
	s_wait_loadcnt_dscnt 0x0
	s_barrier_signal -1
	s_barrier_wait -1
	global_inv scope:SCOPE_SE
	v_add3_u32 v26, 0, v17, v26
	v_lshrrev_b32_e32 v31, 16, v19
	v_lshrrev_b32_e32 v17, 16, v6
	;; [unrolled: 1-line block ×19, first 2 shown]
	v_mul_f16_e32 v45, v36, v31
	v_mul_f16_e32 v36, v36, v19
	v_mul_f16_e32 v46, v37, v32
	v_mul_f16_e32 v37, v37, v22
	v_mul_f16_e32 v47, v38, v33
	v_mul_f16_e32 v38, v38, v23
	v_mul_f16_e32 v48, v39, v34
	v_mul_f16_e32 v39, v39, v24
	v_mul_f16_e32 v49, v40, v35
	v_mul_f16_e32 v40, v40, v25
	v_mul_f16_e32 v50, v17, v41
	v_mul_f16_e32 v41, v6, v41
	v_mul_f16_e32 v51, v28, v42
	v_mul_f16_e32 v42, v7, v42
	v_mul_f16_e32 v52, v29, v43
	v_mul_f16_e32 v43, v20, v43
	v_mul_f16_e32 v53, v30, v44
	v_mul_f16_e32 v44, v21, v44
	v_fmac_f16_e32 v45, v9, v19
	v_fma_f16 v9, v9, v31, -v36
	v_fmac_f16_e32 v46, v10, v22
	v_fma_f16 v10, v10, v32, -v37
	;; [unrolled: 2-line block ×9, first 2 shown]
	v_add_f16_e32 v15, v18, v46
	v_add_f16_e32 v16, v48, v50
	v_sub_f16_e32 v20, v46, v48
	v_add_f16_e32 v22, v46, v52
	v_sub_f16_e32 v23, v48, v46
	v_sub_f16_e32 v29, v46, v52
	;; [unrolled: 1-line block ×4, first 2 shown]
	v_add_f16_e32 v44, v9, v11
	v_add_f16_e32 v46, v13, v7
	;; [unrolled: 1-line block ×3, first 2 shown]
	v_sub_f16_e32 v21, v52, v50
	v_sub_f16_e32 v24, v50, v52
	v_add_f16_e32 v25, v27, v10
	v_add_f16_e32 v28, v12, v6
	v_sub_f16_e32 v30, v48, v50
	v_add_f16_e32 v35, v45, v47
	v_add_f16_e32 v36, v49, v51
	v_sub_f16_e32 v37, v11, v0
	v_sub_f16_e32 v38, v13, v7
	;; [unrolled: 1-line block ×4, first 2 shown]
	v_add_f16_e32 v41, v47, v53
	v_sub_f16_e32 v42, v49, v47
	v_sub_f16_e32 v47, v47, v53
	;; [unrolled: 1-line block ×5, first 2 shown]
	v_add_f16_e32 v15, v15, v48
	v_fma_f16 v48, -0.5, v16, v18
	v_fmac_f16_e32 v18, -0.5, v22
	v_add_f16_e32 v22, v31, v32
	v_add_f16_e32 v13, v44, v13
	v_fma_f16 v31, -0.5, v46, v9
	v_fmac_f16_e32 v9, -0.5, v57
	v_sub_f16_e32 v17, v10, v14
	v_sub_f16_e32 v19, v12, v6
	v_add_f16_e32 v33, v10, v14
	v_sub_f16_e32 v10, v12, v10
	v_sub_f16_e32 v34, v6, v14
	;; [unrolled: 1-line block ×4, first 2 shown]
	v_add_f16_e32 v16, v20, v21
	v_add_f16_e32 v20, v23, v24
	;; [unrolled: 1-line block ×3, first 2 shown]
	v_fma_f16 v21, -0.5, v28, v27
	v_add_f16_e32 v23, v35, v49
	v_fma_f16 v24, -0.5, v36, v45
	v_add_f16_e32 v25, v39, v40
	v_fmac_f16_e32 v45, -0.5, v41
	v_add_f16_e32 v7, v13, v7
	v_fmamk_f16 v13, v47, 0x3b9c, v31
	v_fmamk_f16 v40, v54, 0xbb9c, v9
	v_fmac_f16_e32 v9, 0x3b9c, v54
	v_fmac_f16_e32 v31, 0xbb9c, v47
	v_sub_f16_e32 v43, v51, v53
	v_fmac_f16_e32 v27, -0.5, v33
	v_add_f16_e32 v10, v10, v34
	v_add_f16_e32 v32, v55, v56
	v_add_f16_e32 v11, v11, v58
	v_add_f16_e32 v15, v15, v50
	v_fmamk_f16 v34, v19, 0x3b9c, v18
	v_fmac_f16_e32 v18, 0xbb9c, v19
	v_add_f16_e32 v6, v12, v6
	v_fmamk_f16 v35, v29, 0x3b9c, v21
	v_fmac_f16_e32 v21, 0xbb9c, v29
	v_add_f16_e32 v12, v23, v51
	v_fmamk_f16 v23, v37, 0xbb9c, v24
	v_fmamk_f16 v39, v38, 0x3b9c, v45
	v_fmac_f16_e32 v13, 0x38b4, v54
	v_fmac_f16_e32 v40, 0x38b4, v47
	;; [unrolled: 1-line block ×6, first 2 shown]
	v_add_f16_e32 v28, v42, v43
	v_fmamk_f16 v33, v17, 0xbb9c, v48
	v_fmamk_f16 v36, v30, 0xbb9c, v27
	v_fmac_f16_e32 v27, 0x3b9c, v30
	v_add_f16_e32 v15, v15, v52
	v_fmac_f16_e32 v34, 0xb8b4, v17
	v_fmac_f16_e32 v18, 0x38b4, v17
	v_add_f16_e32 v14, v6, v14
	v_fmac_f16_e32 v35, 0x38b4, v30
	;; [unrolled: 3-line block ×4, first 2 shown]
	v_fmac_f16_e32 v40, 0x34f2, v11
	v_fmac_f16_e32 v45, 0x38b4, v37
	;; [unrolled: 1-line block ×15, first 2 shown]
	v_add_f16_e32 v6, v15, v12
	v_add_f16_e32 v0, v14, v7
	v_sub_f16_e32 v11, v15, v12
	v_sub_f16_e32 v29, v14, v7
	v_mul_f16_e32 v12, 0xb8b4, v13
	v_mul_f16_e32 v14, 0xbb9c, v40
	;; [unrolled: 1-line block ×4, first 2 shown]
	v_fmac_f16_e32 v45, 0x34f2, v28
	v_mul_f16_e32 v15, 0xbb9c, v9
	v_mul_f16_e32 v9, 0xb4f2, v9
	v_fmac_f16_e32 v48, 0x38b4, v19
	v_fmac_f16_e32 v24, 0x34f2, v25
	v_mul_f16_e32 v19, 0xb8b4, v31
	v_mul_f16_e32 v28, 0xba79, v31
	v_fmac_f16_e32 v33, 0x34f2, v16
	v_fmac_f16_e32 v36, 0x34f2, v10
	;; [unrolled: 1-line block ×12, first 2 shown]
	v_add_f16_e32 v7, v33, v12
	v_add_f16_e32 v16, v34, v14
	v_add_f16_e32 v24, v35, v20
	v_add_f16_e32 v25, v36, v22
	v_add_f16_e32 v17, v18, v15
	v_add_f16_e32 v32, v27, v9
	v_add_f16_e32 v10, v48, v19
	v_add_f16_e32 v31, v21, v28
	v_sub_f16_e32 v12, v33, v12
	v_sub_f16_e32 v13, v34, v14
	;; [unrolled: 1-line block ×8, first 2 shown]
	v_pack_b32_f16 v37, v6, v0
	v_pack_b32_f16 v9, v7, v24
	;; [unrolled: 1-line block ×10, first 2 shown]
	ds_store_2addr_b32 v26, v37, v9 offset1:10
	ds_store_2addr_b32 v26, v18, v19 offset0:20 offset1:30
	ds_store_2addr_b32 v26, v20, v38 offset0:40 offset1:50
	;; [unrolled: 1-line block ×4, first 2 shown]
	global_wb scope:SCOPE_SE
	s_wait_dscnt 0x0
	s_barrier_signal -1
	s_barrier_wait -1
	global_inv scope:SCOPE_SE
                                        ; implicit-def: $vgpr23
                                        ; implicit-def: $vgpr36
                                        ; implicit-def: $vgpr38
                                        ; implicit-def: $vgpr19
                                        ; implicit-def: $vgpr37
	s_and_saveexec_b32 s1, s0
	s_cbranch_execz .LBB0_15
; %bb.14:
	v_mul_i32_i24_e32 v0, 0xffffffdc, v3
	s_delay_alu instid0(VALU_DEP_1) | instskip(NEXT) | instid1(VALU_DEP_1)
	v_add_nc_u32_e32 v0, v8, v0
	v_add_nc_u32_e32 v8, 0xc00, v0
	;; [unrolled: 1-line block ×4, first 2 shown]
	ds_load_2addr_b32 v[6:7], v0 offset1:100
	ds_load_b32 v36, v0 offset:4800
	ds_load_2addr_b32 v[14:15], v8 offset0:32 offset1:132
	v_add_nc_u32_e32 v8, 0x400, v0
	v_add_nc_u32_e32 v0, 0x800, v0
	ds_load_2addr_b32 v[18:19], v9 offset0:104 offset1:204
	ds_load_2addr_b32 v[16:17], v10 offset0:72 offset1:172
	ds_load_2addr_b32 v[10:11], v8 offset0:144 offset1:244
	ds_load_2addr_b32 v[12:13], v0 offset0:88 offset1:188
	s_wait_dscnt 0x6
	v_lshrrev_b32_e32 v0, 16, v6
	s_wait_dscnt 0x5
	v_lshrrev_b32_e32 v23, 16, v36
	v_lshrrev_b32_e32 v24, 16, v7
	s_wait_dscnt 0x4
	v_lshrrev_b32_e32 v30, 16, v14
	;; [unrolled: 3-line block ×6, first 2 shown]
	v_lshrrev_b32_e32 v34, 16, v13
.LBB0_15:
	s_wait_alu 0xfffe
	s_or_b32 exec_lo, exec_lo, s1
	v_cmp_gt_u32_e64 s1, 0x64, v3
	s_delay_alu instid0(VALU_DEP_1)
	s_and_b32 s1, vcc_lo, s1
	s_wait_alu 0xfffe
	s_and_saveexec_b32 s4, s1
	s_cbranch_execz .LBB0_17
; %bb.16:
	v_dual_mov_b32 v9, 0 :: v_dual_add_nc_u32 v8, 0xffffff9c, v3
	s_delay_alu instid0(VALU_DEP_1) | instskip(NEXT) | instid1(VALU_DEP_1)
	v_cndmask_b32_e64 v8, v8, v3, s0
	v_mul_i32_i24_e32 v8, 12, v8
	s_delay_alu instid0(VALU_DEP_1) | instskip(SKIP_1) | instid1(VALU_DEP_2)
	v_lshlrev_b64_e32 v[20:21], 2, v[8:9]
	v_mul_lo_u32 v8, s3, v4
	v_add_co_u32 v20, vcc_lo, s8, v20
	s_wait_alu 0xfffd
	s_delay_alu instid0(VALU_DEP_3)
	v_add_co_ci_u32_e32 v21, vcc_lo, s9, v21, vcc_lo
	s_clause 0x2
	global_load_b128 v[39:42], v[20:21], off offset:392
	global_load_b128 v[43:46], v[20:21], off offset:360
	;; [unrolled: 1-line block ×3, first 2 shown]
	v_mul_lo_u32 v20, s2, v5
	v_mad_co_u64_u32 v[4:5], null, s2, v4, 0
	s_delay_alu instid0(VALU_DEP_1)
	v_add3_u32 v5, v5, v20, v8
	s_wait_loadcnt 0x2
	v_lshrrev_b32_e32 v20, 16, v42
	s_wait_loadcnt 0x1
	v_lshrrev_b32_e32 v26, 16, v43
	v_lshrrev_b32_e32 v8, 16, v39
	;; [unrolled: 1-line block ×6, first 2 shown]
	s_wait_loadcnt 0x0
	v_lshrrev_b32_e32 v54, 16, v49
	v_lshrrev_b32_e32 v55, 16, v50
	v_mul_f16_e32 v56, v36, v20
	v_mul_f16_e32 v57, v7, v26
	;; [unrolled: 1-line block ×3, first 2 shown]
	v_lshrrev_b32_e32 v51, 16, v46
	v_mul_f16_e32 v20, v23, v20
	v_mul_f16_e32 v59, v19, v21
	v_mul_f16_e32 v60, v16, v28
	v_mul_f16_e32 v61, v25, v28
	v_mul_f16_e32 v21, v38, v21
	v_mul_f16_e32 v62, v18, v22
	v_mul_f16_e32 v63, v17, v33
	v_mul_f16_e32 v64, v32, v33
	v_mul_f16_e32 v65, v15, v8
	v_mul_f16_e32 v26, v27, v8
	v_mul_f16_e32 v8, v14, v55
	v_mul_f16_e32 v28, v30, v55
	v_mul_f16_e32 v55, v13, v54
	v_mul_f16_e32 v33, v34, v54
	v_fma_f16 v23, v23, v42, -v56
	v_fma_f16 v54, v24, v43, -v57
	v_fmac_f16_e32 v58, v7, v43
	v_lshrrev_b32_e32 v52, 16, v47
	v_lshrrev_b32_e32 v53, 16, v48
	v_mul_f16_e32 v22, v37, v22
	v_mul_f16_e32 v66, v10, v51
	;; [unrolled: 1-line block ×3, first 2 shown]
	v_fmac_f16_e32 v20, v36, v42
	v_fma_f16 v24, v38, v41, -v59
	v_fma_f16 v36, v25, v44, -v60
	v_fmac_f16_e32 v61, v16, v44
	v_fmac_f16_e32 v21, v19, v41
	v_fma_f16 v25, v37, v40, -v62
	v_fma_f16 v37, v32, v45, -v63
	v_fmac_f16_e32 v64, v17, v45
	v_fma_f16 v30, v30, v50, -v8
	v_fmac_f16_e32 v28, v14, v50
	;; [unrolled: 2-line block ×3, first 2 shown]
	v_add_f16_e32 v41, v23, v54
	v_sub_f16_e32 v45, v54, v23
	v_add_f16_e32 v49, v6, v58
	v_add_f16_e32 v50, v0, v54
	v_mul_f16_e32 v67, v11, v52
	v_mul_f16_e32 v52, v29, v52
	;; [unrolled: 1-line block ×3, first 2 shown]
	v_fmac_f16_e32 v22, v18, v40
	v_fma_f16 v38, v31, v46, -v66
	v_fmac_f16_e32 v51, v10, v46
	v_sub_f16_e32 v19, v58, v20
	v_add_f16_e32 v42, v24, v36
	v_add_f16_e32 v17, v20, v58
	v_sub_f16_e32 v46, v36, v24
	v_mul_f16_e32 v54, 0xbbc4, v41
	v_mul_f16_e32 v58, 0xb3a8, v45
	;; [unrolled: 1-line block ×4, first 2 shown]
	v_add_f16_e32 v49, v49, v61
	v_add_f16_e32 v36, v50, v36
	v_mul_f16_e32 v53, v35, v53
	v_fma_f16 v27, v27, v39, -v65
	v_fmac_f16_e32 v26, v15, v39
	v_fma_f16 v39, v29, v47, -v67
	v_fmac_f16_e32 v52, v11, v47
	v_fma_f16 v40, v35, v48, -v68
	v_sub_f16_e32 v18, v61, v21
	v_sub_f16_e32 v11, v64, v22
	v_add_f16_e32 v16, v21, v61
	v_add_f16_e32 v15, v22, v64
	v_mul_f16_e32 v55, 0x3b15, v42
	v_mul_f16_e32 v59, 0x3770, v46
	;; [unrolled: 1-line block ×8, first 2 shown]
	v_fmamk_f16 v50, v19, 0x33a8, v54
	v_fmamk_f16 v80, v17, 0xbbc4, v58
	;; [unrolled: 1-line block ×3, first 2 shown]
	v_add_f16_e32 v49, v49, v64
	v_fmamk_f16 v64, v17, 0xb5ac, v70
	v_add_f16_e32 v36, v36, v37
	v_fmac_f16_e32 v53, v12, v48
	v_add_f16_e32 v43, v25, v37
	v_add_f16_e32 v44, v27, v38
	v_sub_f16_e32 v47, v37, v25
	v_sub_f16_e32 v48, v38, v27
	v_mul_f16_e32 v65, 0x2fb7, v42
	v_mul_f16_e32 v69, 0xb9fd, v42
	;; [unrolled: 1-line block ×7, first 2 shown]
	v_fmamk_f16 v61, v18, 0xb770, v55
	v_fmamk_f16 v81, v16, 0x3b15, v59
	;; [unrolled: 1-line block ×7, first 2 shown]
	v_add_f16_e32 v50, v0, v50
	v_add_f16_e32 v36, v36, v38
	v_fmamk_f16 v38, v17, 0x2fb7, v74
	v_add_f16_e32 v80, v6, v80
	v_add_f16_e32 v84, v6, v84
	;; [unrolled: 1-line block ×3, first 2 shown]
	v_sub_f16_e32 v10, v51, v26
	v_add_f16_e32 v14, v26, v51
	v_mul_f16_e32 v77, 0xb5ac, v42
	v_mul_f16_e32 v79, 0xbb7b, v46
	v_mul_f16_e32 v42, 0x388b, v42
	v_mul_f16_e32 v45, 0xb770, v45
	v_fmamk_f16 v83, v18, 0xbbf1, v65
	v_fmamk_f16 v87, v18, 0xb94e, v69
	v_add_f16_e32 v49, v49, v51
	v_fmamk_f16 v51, v18, 0x33a8, v73
	v_add_f16_e32 v82, v0, v82
	v_add_f16_e32 v50, v50, v61
	v_fmamk_f16 v61, v16, 0xbbc4, v75
	v_add_f16_e32 v80, v80, v81
	v_fmamk_f16 v81, v19, 0x3a95, v76
	v_add_f16_e32 v86, v0, v86
	v_add_f16_e32 v84, v84, v85
	v_fmamk_f16 v85, v17, 0x388b, v78
	v_add_f16_e32 v37, v0, v37
	v_add_f16_e32 v38, v6, v38
	;; [unrolled: 1-line block ×3, first 2 shown]
	v_fmamk_f16 v88, v19, 0x3770, v41
	v_fma_f16 v66, v17, 0xb9fd, -v66
	v_mul_f16_e32 v56, 0xb9fd, v43
	v_mul_f16_e32 v46, 0xba95, v46
	v_add_f16_e32 v82, v82, v83
	v_fmamk_f16 v83, v18, 0x3b7b, v77
	v_add_f16_e32 v86, v86, v87
	v_fmamk_f16 v87, v16, 0xb5ac, v79
	;; [unrolled: 2-line block ×3, first 2 shown]
	v_add_f16_e32 v81, v0, v81
	v_add_f16_e32 v38, v38, v61
	v_fmamk_f16 v61, v17, 0x3b15, v45
	v_add_f16_e32 v85, v6, v85
	v_add_f16_e32 v88, v0, v88
	v_fmac_f16_e32 v68, 0xbb7b, v19
	v_fma_f16 v67, v16, 0x2fb7, -v67
	v_fma_f16 v70, v17, 0xb5ac, -v70
	v_add_f16_e32 v66, v6, v66
	v_mul_f16_e32 v60, 0xb94e, v47
	v_add_f16_e32 v81, v81, v83
	v_fmamk_f16 v83, v16, 0x388b, v46
	v_add_f16_e32 v61, v6, v61
	v_add_f16_e32 v85, v85, v87
	v_mul_f16_e32 v87, 0x388b, v43
	v_add_f16_e32 v51, v88, v51
	v_mul_f16_e32 v88, 0xba95, v47
	v_fmac_f16_e32 v54, 0xb3a8, v19
	v_fma_f16 v58, v17, 0xbbc4, -v58
	v_fmac_f16_e32 v63, 0xb94e, v19
	v_fmac_f16_e32 v69, 0x394e, v18
	v_add_f16_e32 v68, v0, v68
	v_fma_f16 v71, v16, 0xb9fd, -v71
	v_add_f16_e32 v70, v6, v70
	v_add_f16_e32 v66, v66, v67
	v_fmamk_f16 v67, v11, 0x394e, v56
	v_add_f16_e32 v32, v30, v39
	v_sub_f16_e32 v8, v52, v28
	v_add_f16_e32 v13, v28, v52
	v_sub_f16_e32 v35, v39, v30
	v_add_f16_e32 v61, v61, v83
	v_mul_f16_e32 v83, 0x3b15, v43
	v_add_f16_e32 v49, v49, v52
	v_mul_f16_e32 v52, 0x3770, v47
	v_add_f16_e32 v36, v36, v39
	v_mul_f16_e32 v39, 0xb5ac, v43
	v_fmac_f16_e32 v55, 0x3770, v18
	v_add_f16_e32 v54, v0, v54
	v_fma_f16 v59, v16, 0x3b15, -v59
	v_add_f16_e32 v58, v6, v58
	v_fmac_f16_e32 v65, 0x3bf1, v18
	v_add_f16_e32 v63, v0, v63
	v_add_f16_e32 v68, v68, v69
	v_fmamk_f16 v69, v15, 0xb9fd, v60
	v_add_f16_e32 v70, v70, v71
	v_fmamk_f16 v71, v11, 0x3a95, v87
	;; [unrolled: 2-line block ×3, first 2 shown]
	v_add_f16_e32 v54, v54, v55
	v_mul_f16_e32 v55, 0x3b7b, v47
	v_add_f16_e32 v58, v58, v59
	v_mul_f16_e32 v59, 0xbbc4, v43
	v_add_f16_e32 v63, v63, v65
	v_mul_f16_e32 v65, 0xb3a8, v47
	v_add_f16_e32 v69, v80, v69
	v_fmamk_f16 v80, v11, 0xb770, v83
	v_add_f16_e32 v71, v82, v71
	v_fmamk_f16 v82, v15, 0x3b15, v52
	;; [unrolled: 2-line block ×3, first 2 shown]
	v_mul_f16_e32 v43, 0x2fb7, v43
	v_mul_f16_e32 v47, 0xbbf1, v47
	v_add_f16_e32 v80, v86, v80
	v_fmamk_f16 v86, v15, 0xb5ac, v55
	v_add_f16_e32 v64, v64, v82
	v_fmamk_f16 v82, v11, 0x33a8, v59
	;; [unrolled: 2-line block ×3, first 2 shown]
	v_mul_f16_e32 v57, 0x388b, v44
	v_mul_f16_e32 v62, 0x3a95, v48
	v_add_f16_e32 v38, v38, v86
	v_fmamk_f16 v86, v11, 0x3bf1, v43
	v_add_f16_e32 v81, v81, v82
	v_fmamk_f16 v82, v15, 0x2fb7, v47
	v_add_f16_e32 v84, v85, v84
	v_mul_f16_e32 v85, 0xbbc4, v44
	v_fma_f16 v88, v15, 0x388b, -v88
	v_fmac_f16_e32 v83, 0x3770, v11
	v_fma_f16 v52, v15, 0x3b15, -v52
	v_sub_f16_e32 v7, v53, v33
	v_add_f16_e32 v12, v33, v53
	v_add_f16_e32 v51, v51, v86
	v_mul_f16_e32 v86, 0x33a8, v48
	v_add_f16_e32 v61, v61, v82
	v_mul_f16_e32 v82, 0x2fb7, v44
	;; [unrolled: 2-line block ×3, first 2 shown]
	v_fmac_f16_e32 v56, 0xb94e, v11
	v_fma_f16 v60, v15, 0xb9fd, -v60
	v_add_f16_e32 v66, v66, v88
	v_fmamk_f16 v88, v10, 0xba95, v57
	v_add_f16_e32 v68, v68, v83
	v_fmamk_f16 v83, v14, 0x388b, v62
	;; [unrolled: 2-line block ×3, first 2 shown]
	v_add_f16_e32 v29, v34, v40
	v_sub_f16_e32 v31, v40, v34
	v_add_f16_e32 v36, v36, v40
	v_mul_f16_e32 v40, 0x3b15, v44
	v_fmac_f16_e32 v87, 0xba95, v11
	v_add_f16_e32 v54, v54, v56
	v_mul_f16_e32 v56, 0x3770, v48
	v_add_f16_e32 v58, v58, v60
	v_mul_f16_e32 v60, 0xb9fd, v44
	v_add_f16_e32 v50, v50, v88
	v_fmamk_f16 v88, v14, 0xbbc4, v86
	v_add_f16_e32 v69, v69, v83
	v_fmamk_f16 v83, v10, 0x3bf1, v82
	;; [unrolled: 2-line block ×3, first 2 shown]
	v_add_f16_e32 v63, v63, v87
	v_mul_f16_e32 v87, 0x394e, v48
	v_mul_f16_e32 v44, 0xb5ac, v44
	;; [unrolled: 1-line block ×3, first 2 shown]
	v_add_f16_e32 v67, v67, v88
	v_fmamk_f16 v88, v10, 0xb770, v40
	v_add_f16_e32 v80, v80, v83
	v_fmamk_f16 v83, v14, 0x3b15, v56
	;; [unrolled: 2-line block ×6, first 2 shown]
	v_add_f16_e32 v84, v84, v88
	v_mul_f16_e32 v88, 0xb5ac, v32
	v_add_f16_e32 v51, v51, v83
	v_mul_f16_e32 v83, 0xbb7b, v35
	;; [unrolled: 2-line block ×3, first 2 shown]
	v_fmac_f16_e32 v57, 0x3a95, v10
	v_fma_f16 v86, v14, 0xbbc4, -v86
	v_fmac_f16_e32 v82, 0xbbf1, v10
	v_fma_f16 v53, v14, 0x2fb7, -v53
	v_add_f16_e32 v33, v33, v49
	v_mul_f16_e32 v49, 0x3770, v35
	v_fma_f16 v62, v14, 0x388b, -v62
	v_add_f16_e32 v34, v34, v36
	v_mul_f16_e32 v36, 0xbbc4, v32
	v_add_f16_e32 v54, v54, v57
	v_mul_f16_e32 v57, 0x33a8, v35
	v_fmac_f16_e32 v85, 0x33a8, v10
	v_add_f16_e32 v66, v66, v86
	v_fmamk_f16 v86, v8, 0x3b7b, v88
	v_add_f16_e32 v68, v68, v82
	v_fmamk_f16 v82, v13, 0xb5ac, v83
	;; [unrolled: 2-line block ×3, first 2 shown]
	v_add_f16_e32 v58, v58, v62
	v_mul_f16_e32 v62, 0x388b, v32
	v_add_f16_e32 v63, v63, v85
	v_mul_f16_e32 v85, 0xba95, v35
	v_add_f16_e32 v50, v50, v86
	v_fmamk_f16 v86, v13, 0x3b15, v49
	v_add_f16_e32 v69, v69, v82
	v_fmamk_f16 v82, v8, 0xb3a8, v36
	v_add_f16_e32 v53, v70, v53
	v_fmamk_f16 v70, v13, 0xbbc4, v57
	v_add_f16_e32 v67, v67, v86
	v_mul_f16_e32 v86, 0x2fb7, v32
	v_add_f16_e32 v80, v80, v82
	v_fmamk_f16 v82, v8, 0x3a95, v62
	v_add_f16_e32 v64, v64, v70
	v_fmamk_f16 v70, v13, 0x388b, v85
	v_mul_f16_e32 v32, 0xb9fd, v32
	v_fmac_f16_e32 v88, 0xbb7b, v8
	v_add_f16_e32 v37, v37, v82
	v_fmamk_f16 v82, v8, 0xbbf1, v86
	v_add_f16_e32 v38, v38, v70
	v_mul_f16_e32 v70, 0x3bf1, v35
	v_mul_f16_e32 v35, 0xb94e, v35
	v_fma_f16 v49, v13, 0x3b15, -v49
	v_add_f16_e32 v71, v71, v82
	v_add_f16_e32 v28, v28, v33
	v_fmamk_f16 v82, v13, 0x2fb7, v70
	v_mul_f16_e32 v33, 0x3bf1, v31
	v_fma_f16 v83, v13, 0xb5ac, -v83
	v_add_f16_e32 v30, v30, v34
	v_mul_f16_e32 v34, 0xb5ac, v29
	v_add_f16_e32 v82, v84, v82
	v_fmamk_f16 v84, v8, 0x394e, v32
	v_add_f16_e32 v54, v54, v88
	v_mul_f16_e32 v88, 0xbb7b, v31
	v_fmac_f16_e32 v81, 0x3770, v8
	v_fmac_f16_e32 v36, 0x33a8, v8
	v_add_f16_e32 v51, v51, v84
	v_fmamk_f16 v84, v13, 0xb9fd, v35
	v_fma_f16 v57, v13, 0xbbc4, -v57
	v_add_f16_e32 v49, v66, v49
	v_add_f16_e32 v58, v58, v83
	v_mul_f16_e32 v83, 0x388b, v29
	v_add_f16_e32 v61, v61, v84
	v_mul_f16_e32 v84, 0x2fb7, v29
	;; [unrolled: 2-line block ×3, first 2 shown]
	v_add_f16_e32 v36, v68, v36
	v_fmamk_f16 v68, v12, 0x2fb7, v33
	v_fmamk_f16 v66, v7, 0xbbf1, v84
	v_add_f16_e32 v52, v52, v57
	v_fmamk_f16 v57, v7, 0x3b7b, v34
	v_add_f16_e32 v26, v26, v28
	v_add_f16_e32 v68, v69, v68
	;; [unrolled: 1-line block ×3, first 2 shown]
	v_fmamk_f16 v66, v12, 0xb5ac, v88
	v_mul_f16_e32 v69, 0xb9fd, v29
	v_add_f16_e32 v53, v53, v57
	v_fmamk_f16 v57, v7, 0xba95, v83
	v_add_f16_e32 v27, v27, v30
	v_add_f16_e32 v66, v67, v66
	v_fmamk_f16 v67, v12, 0x388b, v81
	v_add_f16_e32 v22, v22, v26
	;; [unrolled: 3-line block ×3, first 2 shown]
	v_add_f16_e32 v64, v64, v67
	v_mul_f16_e32 v67, 0xb94e, v31
	v_mul_f16_e32 v28, 0xb3a8, v31
	v_add_f16_e32 v37, v37, v80
	v_fma_f16 v74, v17, 0x2fb7, -v74
	v_add_f16_e32 v21, v21, v22
	v_fmamk_f16 v80, v12, 0xb9fd, v67
	v_add_f16_e32 v22, v24, v25
	v_fmamk_f16 v30, v12, 0xbbc4, v28
	v_fmac_f16_e32 v34, 0xbb7b, v7
	v_fmac_f16_e32 v83, 0x3a95, v7
	v_add_f16_e32 v38, v38, v80
	v_mul_f16_e32 v80, 0x3b15, v29
	v_add_f16_e32 v74, v6, v74
	v_add_f16_e32 v20, v20, v21
	;; [unrolled: 1-line block ×3, first 2 shown]
	v_fma_f16 v22, v16, 0xbbc4, -v75
	v_fmamk_f16 v89, v7, 0xb770, v80
	v_fmac_f16_e32 v76, 0xba95, v19
	v_fmac_f16_e32 v72, 0xbbf1, v19
	v_add_f16_e32 v26, v61, v30
	v_add_f16_e32 v24, v63, v34
	;; [unrolled: 1-line block ×3, first 2 shown]
	v_mul_f16_e32 v89, 0x3770, v31
	v_fma_f16 v31, v12, 0x2fb7, -v33
	v_add_f16_e32 v22, v74, v22
	v_fma_f16 v34, v15, 0xb5ac, -v55
	v_fmac_f16_e32 v77, 0xbb7b, v18
	v_fma_f16 v33, v12, 0xb5ac, -v88
	v_add_f16_e32 v30, v58, v31
	v_add_f16_e32 v31, v36, v83
	;; [unrolled: 1-line block ×3, first 2 shown]
	v_fmac_f16_e32 v73, 0xb3a8, v18
	v_add_f16_e32 v72, v0, v72
	v_add_f16_e32 v22, v22, v34
	v_fma_f16 v34, v14, 0x3b15, -v56
	v_add_f16_e32 v36, v36, v77
	v_fmac_f16_e32 v59, 0xb3a8, v11
	v_add_f16_e32 v25, v49, v33
	v_add_f16_e32 v33, v72, v73
	v_fmac_f16_e32 v39, 0x3b7b, v11
	v_add_f16_e32 v22, v22, v34
	v_fma_f16 v34, v13, 0x388b, -v85
	v_add_f16_e32 v36, v36, v59
	v_fmac_f16_e32 v60, 0x394e, v10
	v_add_f16_e32 v33, v33, v39
	v_fmac_f16_e32 v86, 0x3bf1, v8
	v_add_f16_e32 v22, v22, v34
	v_fma_f16 v34, v12, 0xb9fd, -v67
	v_add_f16_e32 v36, v36, v60
	v_fma_f16 v39, v17, 0x388b, -v78
	v_fmac_f16_e32 v41, 0xb770, v19
	v_fmac_f16_e32 v42, 0xba95, v18
	v_add_f16_e32 v19, v22, v34
	v_add_f16_e32 v22, v36, v86
	;; [unrolled: 1-line block ×3, first 2 shown]
	v_fma_f16 v36, v16, 0xb5ac, -v79
	v_add_f16_e32 v0, v0, v41
	v_fma_f16 v17, v17, 0x3b15, -v45
	v_fmac_f16_e32 v43, 0xbbf1, v11
	v_fma_f16 v11, v16, 0x388b, -v46
	v_add_f16_e32 v18, v34, v36
	v_fma_f16 v34, v15, 0xbbc4, -v65
	v_add_f16_e32 v0, v0, v42
	v_add_f16_e32 v6, v6, v17
	v_fmac_f16_e32 v40, 0x3770, v10
	v_fma_f16 v17, v14, 0xb9fd, -v87
	v_add_f16_e32 v16, v18, v34
	v_add_f16_e32 v0, v0, v43
	v_fmac_f16_e32 v44, 0xbb7b, v10
	v_add_f16_e32 v6, v6, v11
	v_fma_f16 v10, v15, 0x2fb7, -v47
	v_fmamk_f16 v90, v12, 0x3b15, v89
	v_mul_f16_e32 v29, 0xbbc4, v29
	v_fmac_f16_e32 v62, 0xba95, v8
	v_add_f16_e32 v11, v16, v17
	v_fma_f16 v15, v13, 0x2fb7, -v70
	v_add_f16_e32 v0, v0, v44
	v_fmac_f16_e32 v32, 0xb94e, v8
	v_add_f16_e32 v6, v6, v10
	v_fma_f16 v8, v14, 0xb5ac, -v48
	v_add_f16_e32 v82, v82, v90
	v_fmamk_f16 v90, v7, 0x33a8, v29
	v_fmac_f16_e32 v84, 0x3bf1, v7
	v_fmac_f16_e32 v69, 0xb94e, v7
	;; [unrolled: 1-line block ×3, first 2 shown]
	v_add_f16_e32 v10, v11, v15
	v_fma_f16 v11, v12, 0x3b15, -v89
	v_add_f16_e32 v0, v0, v32
	v_fmac_f16_e32 v29, 0xb3a8, v7
	v_add_f16_e32 v7, v6, v8
	v_lshlrev_b64_e32 v[5:6], 2, v[4:5]
	v_add_f16_e32 v10, v10, v11
	v_mov_b32_e32 v4, v9
	v_add_f16_e32 v11, v0, v29
	v_lshlrev_b64_e32 v[0:1], 2, v[1:2]
	v_add_f16_e32 v33, v33, v40
	v_add_co_u32 v5, vcc_lo, s6, v5
	s_wait_alu 0xfffd
	v_add_co_ci_u32_e32 v6, vcc_lo, s7, v6, vcc_lo
	v_lshlrev_b64_e32 v[2:3], 2, v[3:4]
	s_delay_alu instid0(VALU_DEP_3)
	v_add_co_u32 v0, vcc_lo, v5, v0
	v_fma_f16 v8, v13, 0xb9fd, -v35
	s_wait_alu 0xfffd
	v_add_co_ci_u32_e32 v1, vcc_lo, v6, v1, vcc_lo
	v_add_f16_e32 v51, v51, v90
	v_fma_f16 v81, v12, 0x388b, -v81
	v_add_f16_e32 v33, v33, v62
	v_add_co_u32 v0, vcc_lo, v0, v2
	v_add_f16_e32 v7, v7, v8
	v_fma_f16 v8, v12, 0xbbc4, -v28
	v_add_f16_e32 v27, v54, v84
	s_wait_alu 0xfffd
	v_add_co_ci_u32_e32 v1, vcc_lo, v1, v3, vcc_lo
	v_pack_b32_f16 v2, v20, v21
	v_add_f16_e32 v23, v52, v81
	v_pack_b32_f16 v3, v26, v51
	v_add_f16_e32 v33, v33, v69
	;; [unrolled: 2-line block ×4, first 2 shown]
	v_pack_b32_f16 v7, v64, v57
	v_pack_b32_f16 v8, v66, v53
	;; [unrolled: 1-line block ×4, first 2 shown]
	s_clause 0x7
	global_store_b32 v[0:1], v2, off
	global_store_b32 v[0:1], v3, off offset:400
	global_store_b32 v[0:1], v5, off offset:800
	;; [unrolled: 1-line block ×7, first 2 shown]
	v_pack_b32_f16 v2, v25, v24
	v_pack_b32_f16 v3, v23, v31
	v_pack_b32_f16 v5, v19, v33
	v_pack_b32_f16 v6, v10, v13
	v_pack_b32_f16 v4, v4, v11
	s_clause 0x4
	global_store_b32 v[0:1], v2, off offset:3200
	global_store_b32 v[0:1], v3, off offset:3600
	;; [unrolled: 1-line block ×5, first 2 shown]
.LBB0_17:
	s_nop 0
	s_sendmsg sendmsg(MSG_DEALLOC_VGPRS)
	s_endpgm
	.section	.rodata,"a",@progbits
	.p2align	6, 0x0
	.amdhsa_kernel fft_rtc_back_len1300_factors_10_10_13_wgs_130_tpt_130_half_op_CI_CI_unitstride_sbrr_dirReg
		.amdhsa_group_segment_fixed_size 0
		.amdhsa_private_segment_fixed_size 0
		.amdhsa_kernarg_size 104
		.amdhsa_user_sgpr_count 2
		.amdhsa_user_sgpr_dispatch_ptr 0
		.amdhsa_user_sgpr_queue_ptr 0
		.amdhsa_user_sgpr_kernarg_segment_ptr 1
		.amdhsa_user_sgpr_dispatch_id 0
		.amdhsa_user_sgpr_private_segment_size 0
		.amdhsa_wavefront_size32 1
		.amdhsa_uses_dynamic_stack 0
		.amdhsa_enable_private_segment 0
		.amdhsa_system_sgpr_workgroup_id_x 1
		.amdhsa_system_sgpr_workgroup_id_y 0
		.amdhsa_system_sgpr_workgroup_id_z 0
		.amdhsa_system_sgpr_workgroup_info 0
		.amdhsa_system_vgpr_workitem_id 0
		.amdhsa_next_free_vgpr 91
		.amdhsa_next_free_sgpr 39
		.amdhsa_reserve_vcc 1
		.amdhsa_float_round_mode_32 0
		.amdhsa_float_round_mode_16_64 0
		.amdhsa_float_denorm_mode_32 3
		.amdhsa_float_denorm_mode_16_64 3
		.amdhsa_fp16_overflow 0
		.amdhsa_workgroup_processor_mode 1
		.amdhsa_memory_ordered 1
		.amdhsa_forward_progress 0
		.amdhsa_round_robin_scheduling 0
		.amdhsa_exception_fp_ieee_invalid_op 0
		.amdhsa_exception_fp_denorm_src 0
		.amdhsa_exception_fp_ieee_div_zero 0
		.amdhsa_exception_fp_ieee_overflow 0
		.amdhsa_exception_fp_ieee_underflow 0
		.amdhsa_exception_fp_ieee_inexact 0
		.amdhsa_exception_int_div_zero 0
	.end_amdhsa_kernel
	.text
.Lfunc_end0:
	.size	fft_rtc_back_len1300_factors_10_10_13_wgs_130_tpt_130_half_op_CI_CI_unitstride_sbrr_dirReg, .Lfunc_end0-fft_rtc_back_len1300_factors_10_10_13_wgs_130_tpt_130_half_op_CI_CI_unitstride_sbrr_dirReg
                                        ; -- End function
	.section	.AMDGPU.csdata,"",@progbits
; Kernel info:
; codeLenInByte = 7896
; NumSgprs: 41
; NumVgprs: 91
; ScratchSize: 0
; MemoryBound: 0
; FloatMode: 240
; IeeeMode: 1
; LDSByteSize: 0 bytes/workgroup (compile time only)
; SGPRBlocks: 5
; VGPRBlocks: 11
; NumSGPRsForWavesPerEU: 41
; NumVGPRsForWavesPerEU: 91
; Occupancy: 15
; WaveLimiterHint : 1
; COMPUTE_PGM_RSRC2:SCRATCH_EN: 0
; COMPUTE_PGM_RSRC2:USER_SGPR: 2
; COMPUTE_PGM_RSRC2:TRAP_HANDLER: 0
; COMPUTE_PGM_RSRC2:TGID_X_EN: 1
; COMPUTE_PGM_RSRC2:TGID_Y_EN: 0
; COMPUTE_PGM_RSRC2:TGID_Z_EN: 0
; COMPUTE_PGM_RSRC2:TIDIG_COMP_CNT: 0
	.text
	.p2alignl 7, 3214868480
	.fill 96, 4, 3214868480
	.type	__hip_cuid_32deff6545ae384c,@object ; @__hip_cuid_32deff6545ae384c
	.section	.bss,"aw",@nobits
	.globl	__hip_cuid_32deff6545ae384c
__hip_cuid_32deff6545ae384c:
	.byte	0                               ; 0x0
	.size	__hip_cuid_32deff6545ae384c, 1

	.ident	"AMD clang version 19.0.0git (https://github.com/RadeonOpenCompute/llvm-project roc-6.4.0 25133 c7fe45cf4b819c5991fe208aaa96edf142730f1d)"
	.section	".note.GNU-stack","",@progbits
	.addrsig
	.addrsig_sym __hip_cuid_32deff6545ae384c
	.amdgpu_metadata
---
amdhsa.kernels:
  - .args:
      - .actual_access:  read_only
        .address_space:  global
        .offset:         0
        .size:           8
        .value_kind:     global_buffer
      - .offset:         8
        .size:           8
        .value_kind:     by_value
      - .actual_access:  read_only
        .address_space:  global
        .offset:         16
        .size:           8
        .value_kind:     global_buffer
      - .actual_access:  read_only
        .address_space:  global
        .offset:         24
        .size:           8
        .value_kind:     global_buffer
      - .actual_access:  read_only
        .address_space:  global
        .offset:         32
        .size:           8
        .value_kind:     global_buffer
      - .offset:         40
        .size:           8
        .value_kind:     by_value
      - .actual_access:  read_only
        .address_space:  global
        .offset:         48
        .size:           8
        .value_kind:     global_buffer
      - .actual_access:  read_only
        .address_space:  global
        .offset:         56
        .size:           8
        .value_kind:     global_buffer
      - .offset:         64
        .size:           4
        .value_kind:     by_value
      - .actual_access:  read_only
        .address_space:  global
        .offset:         72
        .size:           8
        .value_kind:     global_buffer
      - .actual_access:  read_only
        .address_space:  global
        .offset:         80
        .size:           8
        .value_kind:     global_buffer
      - .actual_access:  read_only
        .address_space:  global
        .offset:         88
        .size:           8
        .value_kind:     global_buffer
      - .actual_access:  write_only
        .address_space:  global
        .offset:         96
        .size:           8
        .value_kind:     global_buffer
    .group_segment_fixed_size: 0
    .kernarg_segment_align: 8
    .kernarg_segment_size: 104
    .language:       OpenCL C
    .language_version:
      - 2
      - 0
    .max_flat_workgroup_size: 130
    .name:           fft_rtc_back_len1300_factors_10_10_13_wgs_130_tpt_130_half_op_CI_CI_unitstride_sbrr_dirReg
    .private_segment_fixed_size: 0
    .sgpr_count:     41
    .sgpr_spill_count: 0
    .symbol:         fft_rtc_back_len1300_factors_10_10_13_wgs_130_tpt_130_half_op_CI_CI_unitstride_sbrr_dirReg.kd
    .uniform_work_group_size: 1
    .uses_dynamic_stack: false
    .vgpr_count:     91
    .vgpr_spill_count: 0
    .wavefront_size: 32
    .workgroup_processor_mode: 1
amdhsa.target:   amdgcn-amd-amdhsa--gfx1201
amdhsa.version:
  - 1
  - 2
...

	.end_amdgpu_metadata
